;; amdgpu-corpus repo=ROCm/rocFFT kind=compiled arch=gfx1030 opt=O3
	.text
	.amdgcn_target "amdgcn-amd-amdhsa--gfx1030"
	.amdhsa_code_object_version 6
	.protected	fft_rtc_back_len525_factors_7_3_5_5_wgs_105_tpt_105_sp_ip_CI_sbrr_dirReg ; -- Begin function fft_rtc_back_len525_factors_7_3_5_5_wgs_105_tpt_105_sp_ip_CI_sbrr_dirReg
	.globl	fft_rtc_back_len525_factors_7_3_5_5_wgs_105_tpt_105_sp_ip_CI_sbrr_dirReg
	.p2align	8
	.type	fft_rtc_back_len525_factors_7_3_5_5_wgs_105_tpt_105_sp_ip_CI_sbrr_dirReg,@function
fft_rtc_back_len525_factors_7_3_5_5_wgs_105_tpt_105_sp_ip_CI_sbrr_dirReg: ; @fft_rtc_back_len525_factors_7_3_5_5_wgs_105_tpt_105_sp_ip_CI_sbrr_dirReg
; %bb.0:
	s_clause 0x2
	s_load_dwordx2 s[14:15], s[4:5], 0x18
	s_load_dwordx4 s[8:11], s[4:5], 0x0
	s_load_dwordx2 s[12:13], s[4:5], 0x50
	v_mul_u32_u24_e32 v1, 0x271, v0
	v_mov_b32_e32 v3, 0
	v_add_nc_u32_sdwa v5, s6, v1 dst_sel:DWORD dst_unused:UNUSED_PAD src0_sel:DWORD src1_sel:WORD_1
	v_mov_b32_e32 v1, 0
	v_mov_b32_e32 v6, v3
	v_mov_b32_e32 v2, 0
	s_waitcnt lgkmcnt(0)
	s_load_dwordx2 s[2:3], s[14:15], 0x0
	v_cmp_lt_u64_e64 s0, s[10:11], 2
	s_and_b32 vcc_lo, exec_lo, s0
	s_cbranch_vccnz .LBB0_8
; %bb.1:
	s_load_dwordx2 s[0:1], s[4:5], 0x10
	v_mov_b32_e32 v1, 0
	s_add_u32 s6, s14, 8
	v_mov_b32_e32 v2, 0
	s_addc_u32 s7, s15, 0
	s_mov_b64 s[18:19], 1
	s_waitcnt lgkmcnt(0)
	s_add_u32 s16, s0, 8
	s_addc_u32 s17, s1, 0
.LBB0_2:                                ; =>This Inner Loop Header: Depth=1
	s_load_dwordx2 s[20:21], s[16:17], 0x0
                                        ; implicit-def: $vgpr7_vgpr8
	s_mov_b32 s0, exec_lo
	s_waitcnt lgkmcnt(0)
	v_or_b32_e32 v4, s21, v6
	v_cmpx_ne_u64_e32 0, v[3:4]
	s_xor_b32 s1, exec_lo, s0
	s_cbranch_execz .LBB0_4
; %bb.3:                                ;   in Loop: Header=BB0_2 Depth=1
	v_cvt_f32_u32_e32 v4, s20
	v_cvt_f32_u32_e32 v7, s21
	s_sub_u32 s0, 0, s20
	s_subb_u32 s22, 0, s21
	v_fmac_f32_e32 v4, 0x4f800000, v7
	v_rcp_f32_e32 v4, v4
	v_mul_f32_e32 v4, 0x5f7ffffc, v4
	v_mul_f32_e32 v7, 0x2f800000, v4
	v_trunc_f32_e32 v7, v7
	v_fmac_f32_e32 v4, 0xcf800000, v7
	v_cvt_u32_f32_e32 v7, v7
	v_cvt_u32_f32_e32 v4, v4
	v_mul_lo_u32 v8, s0, v7
	v_mul_hi_u32 v9, s0, v4
	v_mul_lo_u32 v10, s22, v4
	v_add_nc_u32_e32 v8, v9, v8
	v_mul_lo_u32 v9, s0, v4
	v_add_nc_u32_e32 v8, v8, v10
	v_mul_hi_u32 v10, v4, v9
	v_mul_lo_u32 v11, v4, v8
	v_mul_hi_u32 v12, v4, v8
	v_mul_hi_u32 v13, v7, v9
	v_mul_lo_u32 v9, v7, v9
	v_mul_hi_u32 v14, v7, v8
	v_mul_lo_u32 v8, v7, v8
	v_add_co_u32 v10, vcc_lo, v10, v11
	v_add_co_ci_u32_e32 v11, vcc_lo, 0, v12, vcc_lo
	v_add_co_u32 v9, vcc_lo, v10, v9
	v_add_co_ci_u32_e32 v9, vcc_lo, v11, v13, vcc_lo
	v_add_co_ci_u32_e32 v10, vcc_lo, 0, v14, vcc_lo
	v_add_co_u32 v8, vcc_lo, v9, v8
	v_add_co_ci_u32_e32 v9, vcc_lo, 0, v10, vcc_lo
	v_add_co_u32 v4, vcc_lo, v4, v8
	v_add_co_ci_u32_e32 v7, vcc_lo, v7, v9, vcc_lo
	v_mul_hi_u32 v8, s0, v4
	v_mul_lo_u32 v10, s22, v4
	v_mul_lo_u32 v9, s0, v7
	v_add_nc_u32_e32 v8, v8, v9
	v_mul_lo_u32 v9, s0, v4
	v_add_nc_u32_e32 v8, v8, v10
	v_mul_hi_u32 v10, v4, v9
	v_mul_lo_u32 v11, v4, v8
	v_mul_hi_u32 v12, v4, v8
	v_mul_hi_u32 v13, v7, v9
	v_mul_lo_u32 v9, v7, v9
	v_mul_hi_u32 v14, v7, v8
	v_mul_lo_u32 v8, v7, v8
	v_add_co_u32 v10, vcc_lo, v10, v11
	v_add_co_ci_u32_e32 v11, vcc_lo, 0, v12, vcc_lo
	v_add_co_u32 v9, vcc_lo, v10, v9
	v_add_co_ci_u32_e32 v9, vcc_lo, v11, v13, vcc_lo
	v_add_co_ci_u32_e32 v10, vcc_lo, 0, v14, vcc_lo
	v_add_co_u32 v8, vcc_lo, v9, v8
	v_add_co_ci_u32_e32 v9, vcc_lo, 0, v10, vcc_lo
	v_add_co_u32 v4, vcc_lo, v4, v8
	v_add_co_ci_u32_e32 v11, vcc_lo, v7, v9, vcc_lo
	v_mul_hi_u32 v13, v5, v4
	v_mad_u64_u32 v[9:10], null, v6, v4, 0
	v_mad_u64_u32 v[7:8], null, v5, v11, 0
	;; [unrolled: 1-line block ×3, first 2 shown]
	v_add_co_u32 v4, vcc_lo, v13, v7
	v_add_co_ci_u32_e32 v7, vcc_lo, 0, v8, vcc_lo
	v_add_co_u32 v4, vcc_lo, v4, v9
	v_add_co_ci_u32_e32 v4, vcc_lo, v7, v10, vcc_lo
	v_add_co_ci_u32_e32 v7, vcc_lo, 0, v12, vcc_lo
	v_add_co_u32 v4, vcc_lo, v4, v11
	v_add_co_ci_u32_e32 v9, vcc_lo, 0, v7, vcc_lo
	v_mul_lo_u32 v10, s21, v4
	v_mad_u64_u32 v[7:8], null, s20, v4, 0
	v_mul_lo_u32 v11, s20, v9
	v_sub_co_u32 v7, vcc_lo, v5, v7
	v_add3_u32 v8, v8, v11, v10
	v_sub_nc_u32_e32 v10, v6, v8
	v_subrev_co_ci_u32_e64 v10, s0, s21, v10, vcc_lo
	v_add_co_u32 v11, s0, v4, 2
	v_add_co_ci_u32_e64 v12, s0, 0, v9, s0
	v_sub_co_u32 v13, s0, v7, s20
	v_sub_co_ci_u32_e32 v8, vcc_lo, v6, v8, vcc_lo
	v_subrev_co_ci_u32_e64 v10, s0, 0, v10, s0
	v_cmp_le_u32_e32 vcc_lo, s20, v13
	v_cmp_eq_u32_e64 s0, s21, v8
	v_cndmask_b32_e64 v13, 0, -1, vcc_lo
	v_cmp_le_u32_e32 vcc_lo, s21, v10
	v_cndmask_b32_e64 v14, 0, -1, vcc_lo
	v_cmp_le_u32_e32 vcc_lo, s20, v7
	;; [unrolled: 2-line block ×3, first 2 shown]
	v_cndmask_b32_e64 v15, 0, -1, vcc_lo
	v_cmp_eq_u32_e32 vcc_lo, s21, v10
	v_cndmask_b32_e64 v7, v15, v7, s0
	v_cndmask_b32_e32 v10, v14, v13, vcc_lo
	v_add_co_u32 v13, vcc_lo, v4, 1
	v_add_co_ci_u32_e32 v14, vcc_lo, 0, v9, vcc_lo
	v_cmp_ne_u32_e32 vcc_lo, 0, v10
	v_cndmask_b32_e32 v8, v14, v12, vcc_lo
	v_cndmask_b32_e32 v10, v13, v11, vcc_lo
	v_cmp_ne_u32_e32 vcc_lo, 0, v7
	v_cndmask_b32_e32 v8, v9, v8, vcc_lo
	v_cndmask_b32_e32 v7, v4, v10, vcc_lo
.LBB0_4:                                ;   in Loop: Header=BB0_2 Depth=1
	s_andn2_saveexec_b32 s0, s1
	s_cbranch_execz .LBB0_6
; %bb.5:                                ;   in Loop: Header=BB0_2 Depth=1
	v_cvt_f32_u32_e32 v4, s20
	s_sub_i32 s1, 0, s20
	v_rcp_iflag_f32_e32 v4, v4
	v_mul_f32_e32 v4, 0x4f7ffffe, v4
	v_cvt_u32_f32_e32 v4, v4
	v_mul_lo_u32 v7, s1, v4
	v_mul_hi_u32 v7, v4, v7
	v_add_nc_u32_e32 v4, v4, v7
	v_mul_hi_u32 v4, v5, v4
	v_mul_lo_u32 v7, v4, s20
	v_add_nc_u32_e32 v8, 1, v4
	v_sub_nc_u32_e32 v7, v5, v7
	v_subrev_nc_u32_e32 v9, s20, v7
	v_cmp_le_u32_e32 vcc_lo, s20, v7
	v_cndmask_b32_e32 v7, v7, v9, vcc_lo
	v_cndmask_b32_e32 v4, v4, v8, vcc_lo
	v_cmp_le_u32_e32 vcc_lo, s20, v7
	v_add_nc_u32_e32 v8, 1, v4
	v_cndmask_b32_e32 v7, v4, v8, vcc_lo
	v_mov_b32_e32 v8, v3
.LBB0_6:                                ;   in Loop: Header=BB0_2 Depth=1
	s_or_b32 exec_lo, exec_lo, s0
	s_load_dwordx2 s[0:1], s[6:7], 0x0
	v_mul_lo_u32 v4, v8, s20
	v_mul_lo_u32 v11, v7, s21
	v_mad_u64_u32 v[9:10], null, v7, s20, 0
	s_add_u32 s18, s18, 1
	s_addc_u32 s19, s19, 0
	s_add_u32 s6, s6, 8
	s_addc_u32 s7, s7, 0
	;; [unrolled: 2-line block ×3, first 2 shown]
	v_add3_u32 v4, v10, v11, v4
	v_sub_co_u32 v5, vcc_lo, v5, v9
	v_sub_co_ci_u32_e32 v4, vcc_lo, v6, v4, vcc_lo
	s_waitcnt lgkmcnt(0)
	v_mul_lo_u32 v6, s1, v5
	v_mul_lo_u32 v4, s0, v4
	v_mad_u64_u32 v[1:2], null, s0, v5, v[1:2]
	v_cmp_ge_u64_e64 s0, s[18:19], s[10:11]
	s_and_b32 vcc_lo, exec_lo, s0
	v_add3_u32 v2, v6, v2, v4
	s_cbranch_vccnz .LBB0_9
; %bb.7:                                ;   in Loop: Header=BB0_2 Depth=1
	v_mov_b32_e32 v5, v7
	v_mov_b32_e32 v6, v8
	s_branch .LBB0_2
.LBB0_8:
	v_mov_b32_e32 v8, v6
	v_mov_b32_e32 v7, v5
.LBB0_9:
	s_lshl_b64 s[0:1], s[10:11], 3
	s_load_dwordx2 s[4:5], s[4:5], 0x20
	s_add_u32 s0, s14, s0
	s_addc_u32 s1, s15, s1
	v_mul_hi_u32 v3, 0x2702703, v0
	s_load_dwordx2 s[0:1], s[0:1], 0x0
	v_mul_u32_u24_e32 v3, 0x69, v3
	v_sub_nc_u32_e32 v18, v0, v3
	s_waitcnt lgkmcnt(0)
	v_cmp_gt_u64_e32 vcc_lo, s[4:5], v[7:8]
	v_lshl_add_u32 v14, v18, 3, 0
	v_add_nc_u32_e32 v19, 0x69, v18
	v_add_nc_u32_e32 v17, 0xd2, v18
	v_mul_lo_u32 v4, s0, v8
	v_mul_lo_u32 v5, s1, v7
	v_mad_u64_u32 v[1:2], null, s0, v7, v[1:2]
	v_add_nc_u32_e32 v16, 0x13b, v18
	v_add_nc_u32_e32 v15, 0x1a4, v18
	v_add3_u32 v2, v5, v2, v4
	v_lshlrev_b64 v[4:5], 3, v[1:2]
	s_and_saveexec_b32 s1, vcc_lo
	s_cbranch_execz .LBB0_11
; %bb.10:
	v_mad_u64_u32 v[0:1], null, s2, v18, 0
	v_mad_u64_u32 v[2:3], null, s2, v19, 0
	;; [unrolled: 1-line block ×6, first 2 shown]
	v_mov_b32_e32 v1, v7
	v_mad_u64_u32 v[20:21], null, s3, v19, v[3:4]
	v_mov_b32_e32 v7, v9
	v_mad_u64_u32 v[21:22], null, s3, v17, v[1:2]
	v_mov_b32_e32 v9, v12
	v_mov_b32_e32 v1, v10
	v_mad_u64_u32 v[12:13], null, s3, v16, v[7:8]
	v_mov_b32_e32 v3, v20
	v_add_co_u32 v22, s0, s12, v4
	v_mov_b32_e32 v7, v21
	v_mad_u64_u32 v[20:21], null, s3, v15, v[9:10]
	v_lshlrev_b64 v[0:1], 3, v[0:1]
	v_add_co_ci_u32_e64 v23, s0, s13, v5, s0
	v_lshlrev_b64 v[2:3], 3, v[2:3]
	v_mov_b32_e32 v9, v12
	v_lshlrev_b64 v[6:7], 3, v[6:7]
	v_add_co_u32 v0, s0, v22, v0
	v_mov_b32_e32 v12, v20
	v_add_co_ci_u32_e64 v1, s0, v23, v1, s0
	v_add_co_u32 v2, s0, v22, v2
	v_lshlrev_b64 v[8:9], 3, v[8:9]
	v_add_co_ci_u32_e64 v3, s0, v23, v3, s0
	v_add_co_u32 v6, s0, v22, v6
	v_lshlrev_b64 v[10:11], 3, v[11:12]
	v_add_co_ci_u32_e64 v7, s0, v23, v7, s0
	v_add_co_u32 v8, s0, v22, v8
	v_add_co_ci_u32_e64 v9, s0, v23, v9, s0
	v_add_co_u32 v10, s0, v22, v10
	v_add_co_ci_u32_e64 v11, s0, v23, v11, s0
	s_clause 0x4
	global_load_dwordx2 v[0:1], v[0:1], off
	global_load_dwordx2 v[2:3], v[2:3], off
	;; [unrolled: 1-line block ×5, first 2 shown]
	v_add_nc_u32_e32 v12, 0x400, v14
	s_waitcnt vmcnt(3)
	ds_write2_b64 v14, v[0:1], v[2:3] offset1:105
	s_waitcnt vmcnt(1)
	ds_write2_b64 v12, v[6:7], v[8:9] offset0:82 offset1:187
	s_waitcnt vmcnt(0)
	ds_write_b64 v14, v[10:11] offset:3360
.LBB0_11:
	s_or_b32 exec_lo, exec_lo, s1
	v_add_nc_u32_e32 v10, 0x800, v14
	s_waitcnt lgkmcnt(0)
	s_barrier
	buffer_gl0_inv
	ds_read2_b64 v[0:3], v14 offset1:75
	ds_read_b64 v[20:21], v14 offset:3600
	ds_read2_b64 v[6:9], v14 offset0:150 offset1:225
	ds_read2_b64 v[10:13], v10 offset0:44 offset1:119
	s_mov_b32 s1, exec_lo
	s_waitcnt lgkmcnt(0)
	s_barrier
	buffer_gl0_inv
	v_add_f32_e32 v22, v2, v20
	v_add_f32_e32 v23, v3, v21
	v_sub_f32_e32 v20, v2, v20
	v_sub_f32_e32 v21, v3, v21
	v_add_f32_e32 v2, v6, v12
	v_add_f32_e32 v3, v7, v13
	v_sub_f32_e32 v6, v6, v12
	v_sub_f32_e32 v7, v7, v13
	;; [unrolled: 4-line block ×4, first 2 shown]
	v_sub_f32_e32 v22, v22, v12
	v_sub_f32_e32 v24, v23, v13
	;; [unrolled: 1-line block ×4, first 2 shown]
	v_add_f32_e32 v23, v8, v6
	v_add_f32_e32 v30, v9, v7
	v_sub_f32_e32 v31, v8, v6
	v_sub_f32_e32 v32, v9, v7
	;; [unrolled: 1-line block ×5, first 2 shown]
	v_add_f32_e32 v8, v12, v10
	v_add_f32_e32 v9, v13, v11
	v_sub_f32_e32 v7, v7, v21
	v_add_f32_e32 v27, v23, v20
	v_add_f32_e32 v23, v30, v21
	;; [unrolled: 1-line block ×4, first 2 shown]
	v_mul_f32_e32 v12, 0x3f4a47b2, v22
	v_mul_f32_e32 v24, 0x3f4a47b2, v24
	;; [unrolled: 1-line block ×8, first 2 shown]
	v_fmamk_f32 v22, v8, 0xbf955555, v0
	v_fmamk_f32 v25, v9, 0xbf955555, v1
	v_fma_f32 v8, 0x3f3bfb3b, v28, -v13
	v_fma_f32 v9, 0x3f3bfb3b, v29, -v26
	;; [unrolled: 1-line block ×8, first 2 shown]
	v_add_f32_e32 v8, v8, v22
	v_add_f32_e32 v9, v9, v25
	;; [unrolled: 1-line block ×3, first 2 shown]
	v_fmac_f32_e32 v33, 0xbee1c552, v23
	v_fmac_f32_e32 v32, 0xbee1c552, v27
	v_add_f32_e32 v31, v31, v25
	v_fmac_f32_e32 v28, 0xbee1c552, v27
	v_fmac_f32_e32 v29, 0xbee1c552, v23
	v_sub_f32_e32 v6, v8, v33
	v_add_f32_e32 v7, v32, v9
	v_add_f32_e32 v10, v33, v8
	v_sub_f32_e32 v11, v9, v32
	v_sub_f32_e32 v8, v30, v29
	v_add_f32_e32 v9, v28, v31
	v_cmpx_gt_u32_e32 0x4b, v18
	s_cbranch_execz .LBB0_13
; %bb.12:
	v_mul_f32_e32 v2, 0xbeae86e6, v2
	v_mul_f32_e32 v3, 0xbeae86e6, v3
	;; [unrolled: 1-line block ×4, first 2 shown]
	v_add_f32_e32 v24, v26, v24
	v_add_f32_e32 v12, v13, v12
	;; [unrolled: 1-line block ×8, first 2 shown]
	v_sub_f32_e32 v3, v31, v28
	v_add_f32_e32 v2, v29, v30
	v_mad_u32_u24 v24, v18, 48, v14
	v_sub_f32_e32 v13, v20, v21
	v_add_f32_e32 v12, v22, v23
	v_add_f32_e32 v21, v21, v20
	v_sub_f32_e32 v20, v22, v23
	ds_write2_b64 v24, v[2:3], v[6:7] offset0:2 offset1:3
	ds_write2_b64 v24, v[0:1], v[12:13] offset1:1
	ds_write2_b64 v24, v[10:11], v[8:9] offset0:4 offset1:5
	ds_write_b64 v24, v[20:21] offset:48
.LBB0_13:
	s_or_b32 exec_lo, exec_lo, s1
	s_waitcnt lgkmcnt(0)
	s_barrier
	buffer_gl0_inv
	ds_read2_b64 v[0:3], v14 offset1:175
	ds_read_b64 v[12:13], v14 offset:2800
	v_cmp_gt_u32_e64 s0, 0x46, v18
	s_and_saveexec_b32 s1, s0
	s_cbranch_execz .LBB0_15
; %bb.14:
	v_add_nc_u32_e32 v6, 0x200, v14
	ds_read2_b64 v[20:23], v6 offset0:41 offset1:216
	ds_read_b64 v[8:9], v14 offset:3640
	s_waitcnt lgkmcnt(1)
	v_mov_b32_e32 v7, v21
	v_mov_b32_e32 v6, v20
	;; [unrolled: 1-line block ×4, first 2 shown]
.LBB0_15:
	s_or_b32 exec_lo, exec_lo, s1
	v_and_b32_e32 v21, 0xff, v18
	v_mov_b32_e32 v23, 0xa8
	v_mul_lo_u16 v20, v21, 37
	v_lshrrev_b16 v20, 8, v20
	v_sub_nc_u16 v22, v18, v20
	v_lshrrev_b16 v22, 1, v22
	v_and_b32_e32 v22, 0x7f, v22
	v_add_nc_u16 v20, v22, v20
	v_mov_b32_e32 v22, 4
	v_lshrrev_b16 v28, 2, v20
	v_mul_lo_u16 v20, v28, 7
	v_mul_u32_u24_sdwa v28, v28, v23 dst_sel:DWORD dst_unused:UNUSED_PAD src0_sel:WORD_0 src1_sel:DWORD
	v_sub_nc_u16 v29, v18, v20
	v_lshlrev_b32_sdwa v20, v22, v29 dst_sel:DWORD dst_unused:UNUSED_PAD src0_sel:DWORD src1_sel:BYTE_0
	global_load_dwordx4 v[24:27], v20, s[8:9]
	v_mov_b32_e32 v20, 3
	s_waitcnt vmcnt(0) lgkmcnt(0)
	s_barrier
	buffer_gl0_inv
	v_lshlrev_b32_sdwa v29, v20, v29 dst_sel:DWORD dst_unused:UNUSED_PAD src0_sel:DWORD src1_sel:BYTE_0
	v_mul_f32_e32 v30, v25, v3
	v_mul_f32_e32 v31, v27, v13
	;; [unrolled: 1-line block ×4, first 2 shown]
	v_fmac_f32_e32 v30, v24, v2
	v_fmac_f32_e32 v31, v26, v12
	v_fma_f32 v2, v24, v3, -v25
	v_fma_f32 v3, v26, v13, -v27
	v_add3_u32 v24, 0, v28, v29
	v_add_f32_e32 v13, v30, v0
	v_add_f32_e32 v12, v30, v31
	;; [unrolled: 1-line block ×4, first 2 shown]
	v_sub_f32_e32 v26, v2, v3
	v_sub_f32_e32 v28, v30, v31
	v_fma_f32 v0, -0.5, v12, v0
	v_add_f32_e32 v2, v13, v31
	v_fma_f32 v1, -0.5, v25, v1
	v_add_f32_e32 v3, v27, v3
	v_fmamk_f32 v12, v26, 0xbf5db3d7, v0
	v_fmac_f32_e32 v0, 0x3f5db3d7, v26
	v_fmamk_f32 v13, v28, 0x3f5db3d7, v1
	v_fmac_f32_e32 v1, 0xbf5db3d7, v28
	ds_write2_b64 v24, v[2:3], v[12:13] offset1:7
	ds_write_b64 v24, v[0:1] offset:112
	s_and_saveexec_b32 s1, s0
	s_cbranch_execz .LBB0_17
; %bb.16:
	v_and_b32_e32 v0, 0xff, v19
	v_mul_lo_u16 v0, v0, 37
	v_lshrrev_b16 v0, 8, v0
	v_sub_nc_u16 v1, v19, v0
	v_lshrrev_b16 v1, 1, v1
	v_and_b32_e32 v1, 0x7f, v1
	v_add_nc_u16 v0, v1, v0
	v_lshrrev_b16 v12, 2, v0
	v_mul_lo_u16 v0, v12, 7
	v_sub_nc_u16 v13, v19, v0
	v_lshlrev_b32_sdwa v0, v22, v13 dst_sel:DWORD dst_unused:UNUSED_PAD src0_sel:DWORD src1_sel:BYTE_0
	global_load_dwordx4 v[0:3], v0, s[8:9]
	s_waitcnt vmcnt(0)
	v_mul_f32_e32 v22, v11, v1
	v_mul_f32_e32 v24, v9, v3
	;; [unrolled: 1-line block ×4, first 2 shown]
	v_fmac_f32_e32 v22, v10, v0
	v_fmac_f32_e32 v24, v8, v2
	v_fma_f32 v0, v11, v0, -v1
	v_fma_f32 v2, v9, v2, -v3
	v_mul_u32_u24_sdwa v3, v12, v23 dst_sel:DWORD dst_unused:UNUSED_PAD src0_sel:WORD_0 src1_sel:DWORD
	v_lshlrev_b32_sdwa v8, v20, v13 dst_sel:DWORD dst_unused:UNUSED_PAD src0_sel:DWORD src1_sel:BYTE_0
	v_add_f32_e32 v10, v22, v24
	v_sub_f32_e32 v9, v22, v24
	v_add_f32_e32 v1, v0, v2
	v_sub_f32_e32 v11, v0, v2
	v_add_f32_e32 v12, v7, v0
	v_add_f32_e32 v13, v6, v22
	v_fma_f32 v0, -0.5, v10, v6
	v_fma_f32 v1, -0.5, v1, v7
	v_add3_u32 v8, 0, v3, v8
	v_add_f32_e32 v3, v12, v2
	v_add_f32_e32 v2, v13, v24
	v_fmamk_f32 v6, v11, 0xbf5db3d7, v0
	v_fmamk_f32 v7, v9, 0x3f5db3d7, v1
	v_fmac_f32_e32 v1, 0xbf5db3d7, v9
	v_fmac_f32_e32 v0, 0x3f5db3d7, v11
	ds_write2_b64 v8, v[2:3], v[6:7] offset1:7
	ds_write_b64 v8, v[0:1] offset:112
.LBB0_17:
	s_or_b32 exec_lo, exec_lo, s1
	v_mul_lo_u16 v0, 0x87, v21
	s_waitcnt lgkmcnt(0)
	s_barrier
	buffer_gl0_inv
	v_add_nc_u32_e32 v31, 0x800, v14
	v_lshrrev_b16 v0, 8, v0
	v_mov_b32_e32 v32, 0x348
	v_lshlrev_b32_e32 v25, 2, v18
	v_mov_b32_e32 v26, 0
	v_sub_nc_u16 v1, v18, v0
	v_lshlrev_b64 v[25:26], 3, v[25:26]
	v_lshrrev_b16 v1, 1, v1
	v_add_co_u32 v25, s0, s8, v25
	v_and_b32_e32 v1, 0x7f, v1
	v_add_co_ci_u32_e64 v26, s0, s9, v26, s0
	v_add_nc_u16 v0, v1, v0
	v_mov_b32_e32 v1, 5
	v_lshrrev_b16 v0, 4, v0
	v_and_b32_e32 v29, 15, v0
	v_mul_lo_u16 v0, v29, 21
	v_mul_u32_u24_sdwa v29, v29, v32 dst_sel:DWORD dst_unused:UNUSED_PAD src0_sel:WORD_0 src1_sel:DWORD
	v_sub_nc_u16 v30, v18, v0
	v_lshlrev_b32_sdwa v6, v1, v30 dst_sel:DWORD dst_unused:UNUSED_PAD src0_sel:DWORD src1_sel:BYTE_0
	v_lshlrev_b32_sdwa v20, v20, v30 dst_sel:DWORD dst_unused:UNUSED_PAD src0_sel:DWORD src1_sel:BYTE_0
	s_clause 0x1
	global_load_dwordx4 v[0:3], v6, s[8:9] offset:112
	global_load_dwordx4 v[6:9], v6, s[8:9] offset:128
	ds_read2_b64 v[10:13], v14 offset0:105 offset1:210
	ds_read2_b64 v[21:24], v31 offset0:59 offset1:164
	ds_read2_b32 v[27:28], v14 offset1:1
	v_add3_u32 v20, 0, v29, v20
	s_waitcnt vmcnt(0) lgkmcnt(0)
	s_barrier
	buffer_gl0_inv
	v_mul_f32_e32 v29, v1, v11
	v_mul_f32_e32 v1, v1, v10
	;; [unrolled: 1-line block ×8, first 2 shown]
	v_fmac_f32_e32 v29, v0, v10
	v_fma_f32 v0, v0, v11, -v1
	v_fmac_f32_e32 v30, v2, v12
	v_fma_f32 v1, v2, v13, -v3
	;; [unrolled: 2-line block ×4, first 2 shown]
	v_add_f32_e32 v2, v29, v27
	v_add_f32_e32 v6, v30, v32
	v_sub_f32_e32 v7, v29, v30
	v_sub_f32_e32 v8, v33, v32
	v_add_f32_e32 v22, v28, v0
	v_add_f32_e32 v23, v1, v3
	;; [unrolled: 1-line block ×4, first 2 shown]
	v_sub_f32_e32 v10, v0, v9
	v_sub_f32_e32 v11, v1, v3
	;; [unrolled: 1-line block ×7, first 2 shown]
	v_add_f32_e32 v2, v2, v30
	v_fma_f32 v0, -0.5, v6, v27
	v_add_f32_e32 v30, v7, v8
	v_add_f32_e32 v7, v22, v1
	v_fma_f32 v1, -0.5, v23, v28
	v_fma_f32 v27, -0.5, v12, v27
	v_fmac_f32_e32 v28, -0.5, v36
	v_sub_f32_e32 v21, v32, v33
	v_sub_f32_e32 v35, v9, v3
	;; [unrolled: 1-line block ×3, first 2 shown]
	v_add_f32_e32 v8, v2, v32
	v_fmamk_f32 v2, v10, 0xbf737871, v0
	v_add_f32_e32 v22, v7, v3
	v_fmamk_f32 v3, v24, 0x3f737871, v1
	v_fmamk_f32 v6, v11, 0x3f737871, v27
	v_fmac_f32_e32 v27, 0xbf737871, v11
	v_fmamk_f32 v7, v29, 0xbf737871, v28
	v_fmac_f32_e32 v28, 0x3f737871, v29
	v_fmac_f32_e32 v0, 0x3f737871, v10
	;; [unrolled: 1-line block ×3, first 2 shown]
	v_add_f32_e32 v12, v13, v21
	v_add_f32_e32 v13, v34, v35
	v_fmac_f32_e32 v2, 0xbf167918, v11
	v_fmac_f32_e32 v3, 0x3f167918, v29
	v_add_f32_e32 v21, v37, v38
	v_fmac_f32_e32 v6, 0xbf167918, v10
	v_fmac_f32_e32 v27, 0x3f167918, v10
	;; [unrolled: 1-line block ×6, first 2 shown]
	v_add_f32_e32 v8, v8, v33
	v_add_f32_e32 v9, v22, v9
	v_fmac_f32_e32 v2, 0x3e9e377a, v30
	v_fmac_f32_e32 v3, 0x3e9e377a, v13
	v_fmac_f32_e32 v6, 0x3e9e377a, v12
	v_fmac_f32_e32 v27, 0x3e9e377a, v12
	v_fmac_f32_e32 v7, 0x3e9e377a, v21
	v_fmac_f32_e32 v28, 0x3e9e377a, v21
	v_fmac_f32_e32 v0, 0x3e9e377a, v30
	v_fmac_f32_e32 v1, 0x3e9e377a, v13
	ds_write2_b64 v20, v[8:9], v[2:3] offset1:21
	ds_write2_b64 v20, v[6:7], v[27:28] offset0:42 offset1:63
	ds_write_b64 v20, v[0:1] offset:672
	s_waitcnt lgkmcnt(0)
	s_barrier
	buffer_gl0_inv
	s_clause 0x1
	global_load_dwordx4 v[6:9], v[25:26], off offset:784
	global_load_dwordx4 v[10:13], v[25:26], off offset:800
	ds_read2_b64 v[20:23], v14 offset0:105 offset1:210
	ds_read2_b64 v[24:27], v31 offset0:59 offset1:164
	ds_read2_b32 v[1:2], v14 offset1:1
	v_add_nc_u32_e32 v0, 0x400, v14
	s_waitcnt vmcnt(0) lgkmcnt(0)
	s_barrier
	buffer_gl0_inv
	v_mul_f32_e32 v3, v7, v21
	v_mul_f32_e32 v7, v7, v20
	;; [unrolled: 1-line block ×8, first 2 shown]
	v_fmac_f32_e32 v3, v6, v20
	v_fma_f32 v6, v6, v21, -v7
	v_fmac_f32_e32 v28, v8, v22
	v_fma_f32 v7, v8, v23, -v9
	;; [unrolled: 2-line block ×4, first 2 shown]
	v_add_f32_e32 v8, v3, v1
	v_add_f32_e32 v10, v28, v29
	v_sub_f32_e32 v11, v3, v28
	v_sub_f32_e32 v12, v30, v29
	v_add_f32_e32 v25, v2, v6
	v_add_f32_e32 v26, v7, v9
	;; [unrolled: 1-line block ×4, first 2 shown]
	v_sub_f32_e32 v20, v6, v13
	v_sub_f32_e32 v21, v7, v9
	v_sub_f32_e32 v23, v28, v3
	v_sub_f32_e32 v3, v3, v30
	v_sub_f32_e32 v27, v28, v29
	v_sub_f32_e32 v31, v6, v7
	v_sub_f32_e32 v34, v7, v6
	v_add_f32_e32 v8, v8, v28
	v_fma_f32 v6, -0.5, v10, v1
	v_add_f32_e32 v28, v11, v12
	v_add_f32_e32 v11, v25, v7
	v_fma_f32 v7, -0.5, v26, v2
	v_fma_f32 v1, -0.5, v22, v1
	v_fmac_f32_e32 v2, -0.5, v33
	v_sub_f32_e32 v24, v29, v30
	v_sub_f32_e32 v32, v13, v9
	;; [unrolled: 1-line block ×3, first 2 shown]
	v_add_f32_e32 v12, v8, v29
	v_fmamk_f32 v8, v20, 0xbf737871, v6
	v_add_f32_e32 v25, v11, v9
	v_fmamk_f32 v9, v3, 0x3f737871, v7
	v_fmamk_f32 v10, v21, 0x3f737871, v1
	v_fmac_f32_e32 v1, 0xbf737871, v21
	v_fmamk_f32 v11, v27, 0xbf737871, v2
	v_fmac_f32_e32 v2, 0x3f737871, v27
	v_fmac_f32_e32 v6, 0x3f737871, v20
	;; [unrolled: 1-line block ×3, first 2 shown]
	v_add_f32_e32 v22, v23, v24
	v_add_f32_e32 v23, v31, v32
	v_fmac_f32_e32 v8, 0xbf167918, v21
	v_fmac_f32_e32 v9, 0x3f167918, v27
	v_add_f32_e32 v24, v34, v35
	v_fmac_f32_e32 v10, 0xbf167918, v20
	v_fmac_f32_e32 v1, 0x3f167918, v20
	;; [unrolled: 1-line block ×6, first 2 shown]
	v_add_f32_e32 v12, v12, v30
	v_add_f32_e32 v13, v25, v13
	v_fmac_f32_e32 v8, 0x3e9e377a, v28
	v_fmac_f32_e32 v9, 0x3e9e377a, v23
	v_fmac_f32_e32 v10, 0x3e9e377a, v22
	v_fmac_f32_e32 v1, 0x3e9e377a, v22
	v_fmac_f32_e32 v11, 0x3e9e377a, v24
	v_fmac_f32_e32 v2, 0x3e9e377a, v24
	v_fmac_f32_e32 v6, 0x3e9e377a, v28
	v_fmac_f32_e32 v7, 0x3e9e377a, v23
	ds_write2_b64 v14, v[12:13], v[8:9] offset1:105
	ds_write2_b64 v0, v[10:11], v[1:2] offset0:82 offset1:187
	ds_write_b64 v14, v[6:7] offset:3360
	s_waitcnt lgkmcnt(0)
	s_barrier
	buffer_gl0_inv
	s_and_saveexec_b32 s0, vcc_lo
	s_cbranch_execz .LBB0_19
; %bb.18:
	v_mad_u64_u32 v[10:11], null, s2, v19, 0
	v_mad_u64_u32 v[1:2], null, s2, v18, 0
	;; [unrolled: 1-line block ×3, first 2 shown]
	ds_read2_b64 v[6:9], v14 offset1:105
	v_add_co_u32 v24, vcc_lo, s12, v4
	v_mov_b32_e32 v3, v11
	v_mad_u64_u32 v[20:21], null, s2, v16, 0
	v_mov_b32_e32 v4, v13
	v_add_co_ci_u32_e32 v25, vcc_lo, s13, v5, vcc_lo
	v_mad_u64_u32 v[22:23], null, s3, v18, v[2:3]
	v_mad_u64_u32 v[18:19], null, s3, v19, v[3:4]
	;; [unrolled: 1-line block ×3, first 2 shown]
	v_mov_b32_e32 v4, v21
	v_mov_b32_e32 v2, v22
	v_mad_u64_u32 v[22:23], null, s2, v15, 0
	v_mov_b32_e32 v11, v18
	v_mad_u64_u32 v[4:5], null, s3, v16, v[4:5]
	v_lshlrev_b64 v[1:2], 3, v[1:2]
	v_mov_b32_e32 v13, v3
	v_lshlrev_b64 v[10:11], 3, v[10:11]
	v_mov_b32_e32 v5, v23
	v_add_co_u32 v16, vcc_lo, v24, v1
	s_waitcnt lgkmcnt(0)
	v_mad_u64_u32 v[18:19], null, s3, v15, v[5:6]
	v_add_co_ci_u32_e32 v17, vcc_lo, v25, v2, vcc_lo
	ds_read2_b64 v[0:3], v0 offset0:82 offset1:187
	v_mov_b32_e32 v21, v4
	v_add_co_u32 v4, vcc_lo, v24, v10
	v_add_co_ci_u32_e32 v5, vcc_lo, v25, v11, vcc_lo
	ds_read_b64 v[10:11], v14 offset:3360
	v_lshlrev_b64 v[12:13], 3, v[12:13]
	v_mov_b32_e32 v23, v18
	v_lshlrev_b64 v[14:15], 3, v[20:21]
	v_add_co_u32 v12, vcc_lo, v24, v12
	v_lshlrev_b64 v[18:19], 3, v[22:23]
	v_add_co_ci_u32_e32 v13, vcc_lo, v25, v13, vcc_lo
	v_add_co_u32 v14, vcc_lo, v24, v14
	v_add_co_ci_u32_e32 v15, vcc_lo, v25, v15, vcc_lo
	v_add_co_u32 v18, vcc_lo, v24, v18
	v_add_co_ci_u32_e32 v19, vcc_lo, v25, v19, vcc_lo
	global_store_dwordx2 v[16:17], v[6:7], off
	global_store_dwordx2 v[4:5], v[8:9], off
	s_waitcnt lgkmcnt(1)
	global_store_dwordx2 v[12:13], v[0:1], off
	global_store_dwordx2 v[14:15], v[2:3], off
	s_waitcnt lgkmcnt(0)
	global_store_dwordx2 v[18:19], v[10:11], off
.LBB0_19:
	s_endpgm
	.section	.rodata,"a",@progbits
	.p2align	6, 0x0
	.amdhsa_kernel fft_rtc_back_len525_factors_7_3_5_5_wgs_105_tpt_105_sp_ip_CI_sbrr_dirReg
		.amdhsa_group_segment_fixed_size 0
		.amdhsa_private_segment_fixed_size 0
		.amdhsa_kernarg_size 88
		.amdhsa_user_sgpr_count 6
		.amdhsa_user_sgpr_private_segment_buffer 1
		.amdhsa_user_sgpr_dispatch_ptr 0
		.amdhsa_user_sgpr_queue_ptr 0
		.amdhsa_user_sgpr_kernarg_segment_ptr 1
		.amdhsa_user_sgpr_dispatch_id 0
		.amdhsa_user_sgpr_flat_scratch_init 0
		.amdhsa_user_sgpr_private_segment_size 0
		.amdhsa_wavefront_size32 1
		.amdhsa_uses_dynamic_stack 0
		.amdhsa_system_sgpr_private_segment_wavefront_offset 0
		.amdhsa_system_sgpr_workgroup_id_x 1
		.amdhsa_system_sgpr_workgroup_id_y 0
		.amdhsa_system_sgpr_workgroup_id_z 0
		.amdhsa_system_sgpr_workgroup_info 0
		.amdhsa_system_vgpr_workitem_id 0
		.amdhsa_next_free_vgpr 39
		.amdhsa_next_free_sgpr 23
		.amdhsa_reserve_vcc 1
		.amdhsa_reserve_flat_scratch 0
		.amdhsa_float_round_mode_32 0
		.amdhsa_float_round_mode_16_64 0
		.amdhsa_float_denorm_mode_32 3
		.amdhsa_float_denorm_mode_16_64 3
		.amdhsa_dx10_clamp 1
		.amdhsa_ieee_mode 1
		.amdhsa_fp16_overflow 0
		.amdhsa_workgroup_processor_mode 1
		.amdhsa_memory_ordered 1
		.amdhsa_forward_progress 0
		.amdhsa_shared_vgpr_count 0
		.amdhsa_exception_fp_ieee_invalid_op 0
		.amdhsa_exception_fp_denorm_src 0
		.amdhsa_exception_fp_ieee_div_zero 0
		.amdhsa_exception_fp_ieee_overflow 0
		.amdhsa_exception_fp_ieee_underflow 0
		.amdhsa_exception_fp_ieee_inexact 0
		.amdhsa_exception_int_div_zero 0
	.end_amdhsa_kernel
	.text
.Lfunc_end0:
	.size	fft_rtc_back_len525_factors_7_3_5_5_wgs_105_tpt_105_sp_ip_CI_sbrr_dirReg, .Lfunc_end0-fft_rtc_back_len525_factors_7_3_5_5_wgs_105_tpt_105_sp_ip_CI_sbrr_dirReg
                                        ; -- End function
	.section	.AMDGPU.csdata,"",@progbits
; Kernel info:
; codeLenInByte = 4328
; NumSgprs: 25
; NumVgprs: 39
; ScratchSize: 0
; MemoryBound: 0
; FloatMode: 240
; IeeeMode: 1
; LDSByteSize: 0 bytes/workgroup (compile time only)
; SGPRBlocks: 3
; VGPRBlocks: 4
; NumSGPRsForWavesPerEU: 25
; NumVGPRsForWavesPerEU: 39
; Occupancy: 16
; WaveLimiterHint : 1
; COMPUTE_PGM_RSRC2:SCRATCH_EN: 0
; COMPUTE_PGM_RSRC2:USER_SGPR: 6
; COMPUTE_PGM_RSRC2:TRAP_HANDLER: 0
; COMPUTE_PGM_RSRC2:TGID_X_EN: 1
; COMPUTE_PGM_RSRC2:TGID_Y_EN: 0
; COMPUTE_PGM_RSRC2:TGID_Z_EN: 0
; COMPUTE_PGM_RSRC2:TIDIG_COMP_CNT: 0
	.text
	.p2alignl 6, 3214868480
	.fill 48, 4, 3214868480
	.type	__hip_cuid_c902aec9c12d5b7b,@object ; @__hip_cuid_c902aec9c12d5b7b
	.section	.bss,"aw",@nobits
	.globl	__hip_cuid_c902aec9c12d5b7b
__hip_cuid_c902aec9c12d5b7b:
	.byte	0                               ; 0x0
	.size	__hip_cuid_c902aec9c12d5b7b, 1

	.ident	"AMD clang version 19.0.0git (https://github.com/RadeonOpenCompute/llvm-project roc-6.4.0 25133 c7fe45cf4b819c5991fe208aaa96edf142730f1d)"
	.section	".note.GNU-stack","",@progbits
	.addrsig
	.addrsig_sym __hip_cuid_c902aec9c12d5b7b
	.amdgpu_metadata
---
amdhsa.kernels:
  - .args:
      - .actual_access:  read_only
        .address_space:  global
        .offset:         0
        .size:           8
        .value_kind:     global_buffer
      - .offset:         8
        .size:           8
        .value_kind:     by_value
      - .actual_access:  read_only
        .address_space:  global
        .offset:         16
        .size:           8
        .value_kind:     global_buffer
      - .actual_access:  read_only
        .address_space:  global
        .offset:         24
        .size:           8
        .value_kind:     global_buffer
      - .offset:         32
        .size:           8
        .value_kind:     by_value
      - .actual_access:  read_only
        .address_space:  global
        .offset:         40
        .size:           8
        .value_kind:     global_buffer
      - .actual_access:  read_only
        .address_space:  global
        .offset:         48
        .size:           8
        .value_kind:     global_buffer
      - .offset:         56
        .size:           4
        .value_kind:     by_value
      - .actual_access:  read_only
        .address_space:  global
        .offset:         64
        .size:           8
        .value_kind:     global_buffer
      - .actual_access:  read_only
        .address_space:  global
        .offset:         72
        .size:           8
        .value_kind:     global_buffer
      - .address_space:  global
        .offset:         80
        .size:           8
        .value_kind:     global_buffer
    .group_segment_fixed_size: 0
    .kernarg_segment_align: 8
    .kernarg_segment_size: 88
    .language:       OpenCL C
    .language_version:
      - 2
      - 0
    .max_flat_workgroup_size: 105
    .name:           fft_rtc_back_len525_factors_7_3_5_5_wgs_105_tpt_105_sp_ip_CI_sbrr_dirReg
    .private_segment_fixed_size: 0
    .sgpr_count:     25
    .sgpr_spill_count: 0
    .symbol:         fft_rtc_back_len525_factors_7_3_5_5_wgs_105_tpt_105_sp_ip_CI_sbrr_dirReg.kd
    .uniform_work_group_size: 1
    .uses_dynamic_stack: false
    .vgpr_count:     39
    .vgpr_spill_count: 0
    .wavefront_size: 32
    .workgroup_processor_mode: 1
amdhsa.target:   amdgcn-amd-amdhsa--gfx1030
amdhsa.version:
  - 1
  - 2
...

	.end_amdgpu_metadata
